;; amdgpu-corpus repo=ROCm/bitsandbytes kind=harvested arch=n/a opt=n/a
	.text
	.amdgcn_target "amdgcn-amd-amdhsa--gfx90a"
	.amdhsa_code_object_version 6
	.protected	_Z18kQuantizeBlockwiseIfLi4096ELi4ELi0ELi0EEvPfPT_S0_PhS0_ii ; -- Begin function _Z18kQuantizeBlockwiseIfLi4096ELi4ELi0ELi0EEvPfPT_S0_PhS0_ii
	.globl	_Z18kQuantizeBlockwiseIfLi4096ELi4ELi0ELi0EEvPfPT_S0_PhS0_ii
	.p2align	8
	.type	_Z18kQuantizeBlockwiseIfLi4096ELi4ELi0ELi0EEvPfPT_S0_PhS0_ii,@function
_Z18kQuantizeBlockwiseIfLi4096ELi4ELi0ELi0EEvPfPT_S0_PhS0_ii: ; @_Z18kQuantizeBlockwiseIfLi4096ELi4ELi0ELi0EEvPfPT_S0_PhS0_ii
; %bb.0:
	s_load_dword s7, s[4:5], 0x30
	s_add_u32 s0, s4, 48
	s_movk_i32 s10, 0x100
	s_addc_u32 s1, s5, 0
	v_cmp_gt_u32_e32 vcc, s10, v0
	s_and_saveexec_b64 s[2:3], vcc
	s_cbranch_execz .LBB115_13
; %bb.1:
	s_load_dword s0, s[0:1], 0xc
	s_waitcnt lgkmcnt(0)
	s_and_b32 s14, s0, 0xffff
	v_cvt_f32_u32_e32 v1, s14
	v_add_u32_e32 v2, s14, v0
	v_mov_b32_e32 v3, s14
	v_cmp_gt_u32_e32 vcc, s10, v2
	v_rcp_iflag_f32_e32 v1, v1
	s_cmp_eq_u32 s14, 1
	v_max_u32_e32 v4, 0x100, v2
	v_addc_co_u32_e64 v2, s[0:1], v0, v3, vcc
	v_mul_f32_e32 v1, 0x4f7ffffe, v1
	v_cvt_u32_f32_e32 v1, v1
	s_cselect_b64 s[12:13], -1, 0
	s_sub_i32 s0, 0, s14
	v_sub_u32_e32 v2, v4, v2
	v_mul_lo_u32 v3, s0, v1
	v_mul_hi_u32 v3, v1, v3
	v_add_u32_e32 v1, v1, v3
	v_mul_hi_u32 v1, v2, v1
	v_mul_lo_u32 v3, v1, s14
	v_sub_u32_e32 v2, v2, v3
	v_add_u32_e32 v4, 1, v1
	v_cmp_le_u32_e64 s[0:1], s14, v2
	v_subrev_u32_e32 v3, s14, v2
	v_cndmask_b32_e64 v1, v1, v4, s[0:1]
	v_cndmask_b32_e64 v2, v2, v3, s[0:1]
	s_load_dwordx2 s[8:9], s[4:5], 0x0
	v_add_u32_e32 v3, 1, v1
	v_cmp_le_u32_e64 s[0:1], s14, v2
	v_cndmask_b32_e64 v3, v1, v3, s[0:1]
	v_addc_co_u32_e64 v1, s[0:1], 1, v3, vcc
	v_cmp_lt_u32_e64 s[0:1], 1, v1
	s_and_b64 s[12:13], s[0:1], s[12:13]
	s_mov_b64 s[10:11], -1
	v_mov_b32_e32 v2, v0
	s_and_saveexec_b64 s[0:1], s[12:13]
	s_cbranch_execz .LBB115_10
; %bb.2:
	v_addc_co_u32_e32 v2, vcc, 0, v3, vcc
	v_add_u32_e32 v2, -1, v2
	v_lshrrev_b32_e32 v3, 1, v2
	v_add_u32_e32 v4, 1, v3
	v_cmp_lt_u32_e32 vcc, 13, v2
	v_mov_b32_e32 v8, 0
	s_and_saveexec_b64 s[10:11], vcc
	s_cbranch_execz .LBB115_6
; %bb.3:
	v_mov_b32_e32 v2, 0x5280
	v_and_b32_e32 v5, -8, v4
	v_lshl_add_u32 v6, v0, 2, v2
	s_mov_b32 s15, 0
	s_mov_b64 s[12:13], 0
	s_waitcnt lgkmcnt(0)
	v_mov_b32_e32 v7, s9
	v_mov_b32_e32 v3, 0
	;; [unrolled: 1-line block ×3, first 2 shown]
.LBB115_4:                              ; =>This Inner Loop Header: Depth=1
	v_lshlrev_b64 v[8:9], 2, v[2:3]
	v_add_u32_e32 v10, 2, v2
	v_mov_b32_e32 v11, v3
	v_add_co_u32_e32 v8, vcc, s8, v8
	v_addc_co_u32_e32 v9, vcc, v7, v9, vcc
	v_lshlrev_b64 v[10:11], 2, v[10:11]
	v_add_u32_e32 v12, 4, v2
	v_mov_b32_e32 v13, v3
	v_add_co_u32_e32 v10, vcc, s8, v10
	v_lshlrev_b64 v[12:13], 2, v[12:13]
	v_addc_co_u32_e32 v11, vcc, v7, v11, vcc
	v_add_u32_e32 v14, 6, v2
	v_mov_b32_e32 v15, v3
	v_add_co_u32_e32 v12, vcc, s8, v12
	v_lshlrev_b64 v[14:15], 2, v[14:15]
	v_addc_co_u32_e32 v13, vcc, v7, v13, vcc
	;; [unrolled: 5-line block ×6, first 2 shown]
	v_add_co_u32_e32 v22, vcc, s8, v22
	v_addc_co_u32_e32 v23, vcc, v7, v23, vcc
	global_load_dwordx2 v[24:25], v[8:9], off
	global_load_dwordx2 v[26:27], v[10:11], off
	;; [unrolled: 1-line block ×8, first 2 shown]
	v_add_u32_e32 v5, -8, v5
	s_add_i32 s15, s15, 16
	v_cmp_eq_u32_e32 vcc, 0, v5
	v_add_u32_e32 v2, 16, v2
	v_mov_b32_e32 v8, s15
	s_or_b64 s[12:13], vcc, s[12:13]
	s_waitcnt vmcnt(7)
	ds_write2_b32 v6, v24, v25 offset1:1
	s_waitcnt vmcnt(6)
	ds_write2_b32 v6, v26, v27 offset0:2 offset1:3
	s_waitcnt vmcnt(5)
	ds_write2_b32 v6, v28, v29 offset0:4 offset1:5
	;; [unrolled: 2-line block ×7, first 2 shown]
	v_add_u32_e32 v6, 64, v6
	s_andn2_b64 exec, exec, s[12:13]
	s_cbranch_execnz .LBB115_4
; %bb.5:
	s_or_b64 exec, exec, s[12:13]
.LBB115_6:
	s_or_b64 exec, exec, s[10:11]
	v_and_b32_e32 v4, 7, v4
	v_cmp_ne_u32_e32 vcc, 0, v4
	s_and_saveexec_b64 s[10:11], vcc
	s_cbranch_execz .LBB115_9
; %bb.7:
	v_add_u32_e32 v2, v0, v8
	v_mov_b32_e32 v3, 0x5280
	v_lshl_add_u32 v5, v2, 2, v3
	s_mov_b64 s[12:13], 0
	v_mov_b32_e32 v3, 0
	s_waitcnt lgkmcnt(0)
	v_mov_b32_e32 v6, s9
.LBB115_8:                              ; =>This Inner Loop Header: Depth=1
	v_lshlrev_b64 v[8:9], 2, v[2:3]
	v_add_co_u32_e32 v8, vcc, s8, v8
	v_addc_co_u32_e32 v9, vcc, v6, v9, vcc
	global_load_dwordx2 v[8:9], v[8:9], off
	v_add_u32_e32 v4, -1, v4
	v_cmp_eq_u32_e32 vcc, 0, v4
	v_add_u32_e32 v2, 2, v2
	s_or_b64 s[12:13], vcc, s[12:13]
	s_waitcnt vmcnt(0)
	ds_write2_b32 v5, v8, v9 offset1:1
	v_add_u32_e32 v5, 8, v5
	s_andn2_b64 exec, exec, s[12:13]
	s_cbranch_execnz .LBB115_8
.LBB115_9:
	s_or_b64 exec, exec, s[10:11]
	v_and_b32_e32 v3, -2, v1
	v_cmp_ne_u32_e32 vcc, v1, v3
	v_add_u32_e32 v2, v0, v3
	s_orn2_b64 s[10:11], vcc, exec
.LBB115_10:
	s_or_b64 exec, exec, s[0:1]
	s_and_b64 exec, exec, s[10:11]
	s_cbranch_execz .LBB115_13
; %bb.11:
	v_mov_b32_e32 v3, 0
	v_lshlrev_b64 v[4:5], 2, v[2:3]
	s_waitcnt lgkmcnt(0)
	v_mov_b32_e32 v1, s9
	v_add_co_u32_e32 v4, vcc, s8, v4
	s_mov_b32 s10, 0
	v_addc_co_u32_e32 v5, vcc, v1, v5, vcc
	v_mov_b32_e32 v1, 0x5280
	s_lshl_b32 s8, s14, 2
	v_lshl_add_u32 v1, v2, 2, v1
	s_mov_b64 s[0:1], 0
	v_mov_b32_e32 v3, s10
	s_movk_i32 s9, 0xff
.LBB115_12:                             ; =>This Inner Loop Header: Depth=1
	global_load_dword v6, v[4:5], off
	v_add_co_u32_e32 v4, vcc, s8, v4
	v_add_u32_e32 v2, s14, v2
	v_addc_co_u32_e32 v5, vcc, v5, v3, vcc
	v_cmp_lt_u32_e32 vcc, s9, v2
	s_or_b64 s[0:1], vcc, s[0:1]
	s_waitcnt vmcnt(0)
	ds_write_b32 v1, v6
	v_add_u32_e32 v1, s8, v1
	s_andn2_b64 exec, exec, s[0:1]
	s_cbranch_execnz .LBB115_12
.LBB115_13:
	s_or_b64 exec, exec, s[2:3]
	s_waitcnt lgkmcnt(0)
	s_lshl_b32 s33, s7, 12
	s_lshl_b32 s34, s6, 12
	s_cmp_ge_i32 s34, s33
	s_cbranch_scc1 .LBB115_78
; %bb.14:
	s_load_dwordx2 s[0:1], s[4:5], 0x8
	s_load_dwordx4 s[24:27], s[4:5], 0x10
	s_load_dword s6, s[4:5], 0x2c
	v_mbcnt_lo_u32_b32 v1, -1, 0
	v_mbcnt_hi_u32_b32 v1, -1, v1
	v_lshlrev_b32_e32 v2, 2, v0
	v_lshlrev_b32_e32 v3, 2, v1
	v_and_b32_e32 v2, 0xf00, v2
	s_waitcnt lgkmcnt(0)
	v_mov_b32_e32 v4, s1
	v_add_co_u32_e32 v5, vcc, s0, v3
	v_addc_co_u32_e32 v4, vcc, 0, v4, vcc
	v_lshlrev_b32_e32 v6, 2, v2
	v_add_co_u32_e32 v10, vcc, v5, v6
	v_addc_co_u32_e32 v11, vcc, 0, v4, vcc
	v_and_b32_e32 v32, 63, v1
	v_cmp_ne_u32_e32 vcc, 63, v32
	v_addc_co_u32_e32 v22, vcc, 0, v1, vcc
	v_cmp_gt_u32_e32 vcc, 62, v32
	v_cndmask_b32_e64 v24, 0, 1, vcc
	v_cmp_gt_u32_e32 vcc, 60, v32
	v_cndmask_b32_e64 v26, 0, 1, vcc
	;; [unrolled: 2-line block ×3, first 2 shown]
	v_cmp_gt_u32_e32 vcc, 48, v32
	v_lshrrev_b32_e32 v34, 4, v0
	v_mov_b32_e32 v35, 0x5680
	v_cndmask_b32_e64 v30, 0, 1, vcc
	v_cmp_gt_u32_e32 vcc, 32, v32
	v_and_or_b32 v34, v34, 60, v35
	v_add_u32_e32 v35, 0x5680, v3
	v_and_b32_e32 v3, 15, v1
	v_cndmask_b32_e64 v32, 0, 1, vcc
	v_cmp_ne_u32_e32 vcc, 15, v3
	v_addc_co_u32_e32 v37, vcc, 0, v1, vcc
	v_or_b32_e32 v12, v1, v2
	v_cmp_gt_u32_e32 vcc, 14, v3
	v_add_u32_e32 v13, 64, v12
	v_lshrrev_b32_e32 v4, 5, v12
	v_cndmask_b32_e64 v39, 0, 1, vcc
	v_cmp_gt_u32_e32 vcc, 12, v3
	v_or_b32_e32 v14, 0x80, v12
	v_lshrrev_b32_e32 v5, 5, v13
	v_add_u32_e32 v36, 1, v3
	v_add_u32_e32 v38, 2, v3
	;; [unrolled: 1-line block ×3, first 2 shown]
	v_cndmask_b32_e64 v41, 0, 1, vcc
	v_cmp_gt_u32_e32 vcc, 8, v3
	v_add_u32_e32 v43, 8, v3
	v_and_b32_e32 v3, 0x78, v4
	v_add_u32_e32 v15, 0xc0, v12
	v_lshrrev_b32_e32 v6, 5, v14
	v_add_u32_e32 v44, v3, v12
	v_and_b32_e32 v3, 0x7c, v5
	v_lshrrev_b32_e32 v7, 5, v15
	v_cndmask_b32_e64 v42, 0, 1, vcc
	v_add_u32_e32 v45, v3, v13
	v_and_b32_e32 v3, 0x7c, v6
	v_and_b32_e32 v20, 0x3c0, v0
	v_lshlrev_b32_e32 v24, 1, v24
	v_lshlrev_b32_e32 v26, 2, v26
	;; [unrolled: 1-line block ×8, first 2 shown]
	v_add_u32_e32 v46, v3, v14
	v_and_b32_e32 v3, 0xfc, v7
	v_add_u32_e32 v8, v1, v20
	v_add_u32_e32 v23, 1, v1
	v_add_lshl_u32 v24, v24, v1, 2
	v_add_u32_e32 v25, 2, v1
	v_add_lshl_u32 v26, v26, v1, 2
	;; [unrolled: 2-line block ×5, first 2 shown]
	v_add_u32_e32 v33, 32, v1
	v_cmp_eq_u32_e64 s[0:1], 0, v1
	v_add_lshl_u32 v39, v39, v1, 2
	v_add_lshl_u32 v41, v41, v1, 2
	;; [unrolled: 1-line block ×3, first 2 shown]
	v_add_u32_e32 v47, v3, v15
	v_mov_b32_e32 v3, s27
	v_add_co_u32_e32 v1, vcc, s26, v1
	v_lshlrev_b32_e32 v9, 2, v8
	v_bfe_u32 v8, v8, 3, 27
	v_addc_co_u32_e32 v3, vcc, 0, v3, vcc
	v_cmp_gt_u32_e64 s[2:3], 16, v0
	v_cmp_eq_u32_e64 s[4:5], 0, v0
	v_and_b32_e32 v0, 0xfc, v8
	v_add_co_u32_e32 v48, vcc, v1, v2
	s_mov_b32 s28, 0
	v_add_lshl_u32 v16, v4, v12, 2
	v_add_lshl_u32 v17, v5, v13, 2
	;; [unrolled: 1-line block ×5, first 2 shown]
	v_lshlrev_b32_e32 v22, 2, v22
	v_lshlrev_b32_e32 v37, 2, v37
	v_add_u32_e32 v0, v0, v9
	v_addc_co_u32_e32 v49, vcc, 0, v3, vcc
	s_sub_i32 s26, s6, s34
	s_mov_b32 s27, 0xff7fffff
	v_mov_b32_e32 v1, 0
	s_movk_i32 s36, 0xff
	s_movk_i32 s37, 0x5400
	;; [unrolled: 1-line block ×3, first 2 shown]
	v_mov_b32_e32 v50, 0x7f
	v_mov_b32_e32 v51, 0xbf
	v_not_b32_e32 v52, 31
	v_mov_b32_e32 v53, 0xff
	s_branch .LBB115_16
.LBB115_15:                             ;   in Loop: Header=BB115_16 Depth=1
	s_or_b64 exec, exec, s[6:7]
	s_add_i32 s34, s34, s33
	s_sub_i32 s26, s26, s33
	s_cmp_ge_i32 s34, s33
	s_cbranch_scc1 .LBB115_78
.LBB115_16:                             ; =>This Inner Loop Header: Depth=1
	s_ashr_i32 s35, s34, 31
	s_lshl_b64 s[6:7], s[34:35], 2
	v_mov_b32_e32 v2, s7
	s_waitcnt lgkmcnt(2)
	v_add_co_u32_e32 v6, vcc, s6, v10
	s_mov_b32 s29, s28
	s_min_i32 s39, s26, 0x1000
	v_addc_co_u32_e32 v7, vcc, v11, v2, vcc
	s_mov_b32 s30, s28
	s_mov_b32 s31, s28
	s_waitcnt lgkmcnt(0)
	v_pk_mov_b32 v[2:3], s[28:29], s[28:29] op_sel:[0,1]
	v_cmp_gt_u32_e64 s[6:7], s39, v12
	v_pk_mov_b32 v[4:5], s[30:31], s[30:31] op_sel:[0,1]
	v_mov_b32_e32 v8, 0
	s_barrier
	s_and_saveexec_b64 s[8:9], s[6:7]
	s_cbranch_execnz .LBB115_71
; %bb.17:                               ;   in Loop: Header=BB115_16 Depth=1
	s_or_b64 exec, exec, s[8:9]
	v_cmp_gt_u32_e64 s[8:9], s39, v13
	s_and_saveexec_b64 s[10:11], s[8:9]
	s_cbranch_execnz .LBB115_72
.LBB115_18:                             ;   in Loop: Header=BB115_16 Depth=1
	s_or_b64 exec, exec, s[10:11]
	v_cmp_gt_u32_e64 s[10:11], s39, v14
	s_and_saveexec_b64 s[12:13], s[10:11]
	s_cbranch_execnz .LBB115_73
.LBB115_19:                             ;   in Loop: Header=BB115_16 Depth=1
	s_or_b64 exec, exec, s[12:13]
	v_cmp_gt_u32_e64 s[12:13], s39, v15
	s_and_saveexec_b64 s[14:15], s[12:13]
	s_cbranch_execz .LBB115_21
.LBB115_20:                             ;   in Loop: Header=BB115_16 Depth=1
	global_load_dword v5, v[6:7], off offset:768
.LBB115_21:                             ;   in Loop: Header=BB115_16 Depth=1
	s_or_b64 exec, exec, s[14:15]
	s_waitcnt vmcnt(0)
	ds_write_b32 v16, v8
	ds_write_b32 v17, v3
	;; [unrolled: 1-line block ×4, first 2 shown]
	; wave barrier
	ds_read2_b32 v[8:9], v21 offset1:1
	ds_read2_b32 v[6:7], v21 offset0:2 offset1:3
	v_sub_u32_e64 v4, s39, v20 clamp
	v_cmp_lt_u32_e64 s[20:21], v33, v4
	s_waitcnt lgkmcnt(1)
	v_max3_f32 v2, |v8|, s27, |v9|
	s_waitcnt lgkmcnt(0)
	v_max3_f32 v2, v2, |v6|, |v7|
	ds_bpermute_b32 v3, v22, v2
	s_waitcnt lgkmcnt(0)
	v_cmp_lt_f32_e32 vcc, v2, v3
	v_cndmask_b32_e32 v3, v2, v3, vcc
	v_cmp_lt_u32_e32 vcc, v23, v4
	v_cndmask_b32_e32 v3, v2, v3, vcc
	ds_bpermute_b32 v5, v24, v3
	s_waitcnt lgkmcnt(0)
	v_cmp_lt_f32_e64 s[14:15], v3, v5
	v_cndmask_b32_e64 v5, v3, v5, s[14:15]
	v_cmp_lt_u32_e64 s[14:15], v25, v4
	v_cndmask_b32_e64 v3, v3, v5, s[14:15]
	ds_bpermute_b32 v5, v26, v3
	s_or_b64 s[14:15], vcc, s[14:15]
	s_waitcnt lgkmcnt(0)
	v_cmp_lt_f32_e64 s[16:17], v3, v5
	v_cndmask_b32_e64 v5, v3, v5, s[16:17]
	v_cmp_lt_u32_e64 s[16:17], v27, v4
	v_cndmask_b32_e64 v3, v3, v5, s[16:17]
	ds_bpermute_b32 v5, v28, v3
	s_or_b64 s[14:15], s[16:17], s[14:15]
	s_waitcnt lgkmcnt(0)
	v_cmp_lt_f32_e64 s[18:19], v3, v5
	v_cndmask_b32_e64 v5, v3, v5, s[18:19]
	v_cmp_lt_u32_e64 s[18:19], v29, v4
	v_cndmask_b32_e64 v3, v3, v5, s[18:19]
	ds_bpermute_b32 v5, v30, v3
	s_or_b64 s[14:15], s[18:19], s[14:15]
	;; [unrolled: 7-line block ×3, first 2 shown]
	s_waitcnt lgkmcnt(0)
	v_cmp_lt_f32_e32 vcc, v3, v4
	s_and_b64 vcc, s[20:21], vcc
	v_cndmask_b32_e32 v3, v3, v4, vcc
	s_or_b64 vcc, s[20:21], s[14:15]
	v_cndmask_b32_e32 v2, v2, v3, vcc
	s_and_saveexec_b64 s[14:15], s[0:1]
	s_cbranch_execz .LBB115_23
; %bb.22:                               ;   in Loop: Header=BB115_16 Depth=1
	ds_write_b32 v34, v2
.LBB115_23:                             ;   in Loop: Header=BB115_16 Depth=1
	s_or_b64 exec, exec, s[14:15]
	s_waitcnt lgkmcnt(0)
	s_barrier
	s_and_saveexec_b64 s[18:19], s[2:3]
	s_cbranch_execz .LBB115_25
; %bb.24:                               ;   in Loop: Header=BB115_16 Depth=1
	ds_read_b32 v2, v35
	s_add_i32 s39, s39, 63
	s_lshr_b32 s16, s39, 6
	s_waitcnt lgkmcnt(0)
	ds_bpermute_b32 v3, v37, v2
	s_waitcnt lgkmcnt(0)
	v_cmp_lt_f32_e32 vcc, v2, v3
	v_cndmask_b32_e32 v3, v2, v3, vcc
	v_cmp_gt_u32_e32 vcc, s16, v36
	v_cndmask_b32_e32 v3, v2, v3, vcc
	ds_bpermute_b32 v4, v39, v3
	s_waitcnt lgkmcnt(0)
	v_cmp_lt_f32_e64 s[14:15], v3, v4
	v_cndmask_b32_e64 v4, v3, v4, s[14:15]
	v_cmp_gt_u32_e64 s[14:15], s16, v38
	v_cndmask_b32_e64 v3, v3, v4, s[14:15]
	ds_bpermute_b32 v4, v41, v3
	s_waitcnt lgkmcnt(0)
	v_cmp_lt_f32_e64 s[14:15], v3, v4
	v_cndmask_b32_e64 v4, v3, v4, s[14:15]
	v_cmp_gt_u32_e64 s[14:15], s16, v40
	v_cndmask_b32_e64 v3, v3, v4, s[14:15]
	ds_bpermute_b32 v4, v42, v3
	v_cmp_gt_u32_e64 s[14:15], s16, v43
	s_waitcnt lgkmcnt(0)
	v_cmp_lt_f32_e64 s[16:17], v3, v4
	s_and_b64 s[14:15], s[14:15], s[16:17]
	v_cndmask_b32_e64 v3, v3, v4, s[14:15]
	v_cndmask_b32_e32 v2, v2, v3, vcc
.LBB115_25:                             ;   in Loop: Header=BB115_16 Depth=1
	s_or_b64 exec, exec, s[18:19]
	s_and_saveexec_b64 s[14:15], s[4:5]
	s_cbranch_execz .LBB115_27
; %bb.26:                               ;   in Loop: Header=BB115_16 Depth=1
	v_div_scale_f32 v3, s[16:17], v2, v2, 1.0
	v_rcp_f32_e32 v4, v3
	v_div_scale_f32 v5, vcc, 1.0, v2, 1.0
	s_ashr_i32 s16, s34, 12
	v_fma_f32 v54, -v3, v4, 1.0
	v_fmac_f32_e32 v4, v54, v4
	v_mul_f32_e32 v54, v5, v4
	v_fma_f32 v55, -v3, v54, v5
	v_fmac_f32_e32 v54, v55, v4
	s_ashr_i32 s17, s16, 31
	v_fma_f32 v3, -v3, v54, v5
	s_lshl_b64 s[16:17], s[16:17], 2
	v_div_fmas_f32 v3, v3, v4, v54
	s_add_u32 s16, s24, s16
	v_div_fixup_f32 v3, v3, v2, 1.0
	s_addc_u32 s17, s25, s17
	ds_write_b32 v1, v3 offset:22208
	global_store_dword v1, v2, s[16:17]
.LBB115_27:                             ;   in Loop: Header=BB115_16 Depth=1
	s_or_b64 exec, exec, s[14:15]
	v_add_u32_e64 v2, s37, 0
	s_waitcnt lgkmcnt(0)
	s_barrier
	ds_read2_b32 v[2:3], v2 offset0:159 offset1:176
	v_add_u32_e64 v4, s38, 0
	ds_read2_b32 v[4:5], v4 offset0:32 offset1:159
	v_mov_b32_e32 v62, -16
	s_waitcnt lgkmcnt(1)
	v_mul_f32_e32 v54, v3, v8
	s_waitcnt lgkmcnt(0)
	v_cmp_lt_f32_e32 vcc, v5, v54
	v_cndmask_b32_e32 v60, 63, v51, vcc
	v_lshlrev_b32_e32 v8, 2, v60
	ds_read_b32 v61, v8 offset:21120
	v_add_u32_e32 v8, 0x5280, v8
	v_cndmask_b32_e32 v55, 0, v50, vcc
	v_cndmask_b32_e32 v58, -1.0, v5, vcc
	s_waitcnt lgkmcnt(0)
	v_cmp_lt_f32_e64 s[14:15], v61, v54
	v_cndmask_b32_e64 v59, v52, 32, s[14:15]
	v_lshl_add_u32 v57, v59, 2, v8
	ds_read_b32 v8, v57
	v_add_u32_e32 v59, v59, v60
	v_cndmask_b32_e64 v56, v55, v60, s[14:15]
	v_cndmask_b32_e64 v58, v58, v61, s[14:15]
	v_mov_b32_e32 v55, v59
	s_waitcnt lgkmcnt(0)
	v_cmp_lt_f32_e64 s[16:17], v8, v54
	s_and_saveexec_b64 s[18:19], s[16:17]
; %bb.28:                               ;   in Loop: Header=BB115_16 Depth=1
	v_cndmask_b32_e32 v55, v50, v53, vcc
	v_cndmask_b32_e64 v56, v5, 1.0, vcc
	v_cndmask_b32_e64 v55, v60, v55, s[14:15]
	v_cndmask_b32_e64 v60, v61, v56, s[14:15]
	v_mov_b32_e32 v62, 16
	v_mov_b32_e32 v56, v59
	;; [unrolled: 1-line block ×4, first 2 shown]
; %bb.29:                               ;   in Loop: Header=BB115_16 Depth=1
	s_or_b64 exec, exec, s[18:19]
	v_lshl_add_u32 v57, v62, 2, v57
	ds_read_b32 v63, v57
	v_add_u32_e32 v64, v62, v59
	v_mov_b32_e32 v62, -4
	s_waitcnt lgkmcnt(0)
	v_cmp_lt_f32_e32 vcc, v63, v54
	v_cndmask_b32_e64 v61, -8, 8, vcc
	v_lshl_add_u32 v59, v61, 2, v57
	ds_read_b32 v57, v59
	v_add_u32_e32 v61, v61, v64
	v_cndmask_b32_e32 v56, v56, v64, vcc
	v_cndmask_b32_e32 v60, v58, v63, vcc
	v_mov_b32_e32 v58, v61
	s_waitcnt lgkmcnt(0)
	v_cmp_lt_f32_e64 s[14:15], v57, v54
	s_and_saveexec_b64 s[16:17], s[14:15]
; %bb.30:                               ;   in Loop: Header=BB115_16 Depth=1
	v_cndmask_b32_e32 v8, v63, v8, vcc
	v_cndmask_b32_e32 v58, v64, v55, vcc
	v_mov_b32_e32 v62, 4
	v_mov_b32_e32 v56, v61
	;; [unrolled: 1-line block ×4, first 2 shown]
; %bb.31:                               ;   in Loop: Header=BB115_16 Depth=1
	s_or_b64 exec, exec, s[16:17]
	v_lshl_add_u32 v8, v62, 2, v59
	ds_read_b32 v63, v8
	v_add_u32_e32 v64, v62, v61
	v_mov_b32_e32 v62, -1
	s_waitcnt lgkmcnt(0)
	v_cmp_lt_f32_e32 vcc, v63, v54
	v_cndmask_b32_e64 v61, -2, 2, vcc
	v_lshl_add_u32 v8, v61, 2, v8
	ds_read_b32 v55, v8
	v_add_u32_e32 v61, v61, v64
	v_cndmask_b32_e32 v59, v56, v64, vcc
	v_cndmask_b32_e32 v60, v60, v63, vcc
	v_mov_b32_e32 v56, v61
	s_waitcnt lgkmcnt(0)
	v_cmp_lt_f32_e64 s[14:15], v55, v54
	s_and_saveexec_b64 s[16:17], s[14:15]
; %bb.32:                               ;   in Loop: Header=BB115_16 Depth=1
	v_cndmask_b32_e32 v57, v63, v57, vcc
	v_cndmask_b32_e32 v56, v64, v58, vcc
	v_mov_b32_e32 v62, 1
	v_mov_b32_e32 v59, v61
	;; [unrolled: 1-line block ×4, first 2 shown]
; %bb.33:                               ;   in Loop: Header=BB115_16 Depth=1
	s_or_b64 exec, exec, s[16:17]
	v_lshl_add_u32 v8, v62, 2, v8
	ds_read_b32 v58, v8
	v_add_u32_e32 v57, v62, v61
                                        ; implicit-def: $vgpr8
	s_waitcnt lgkmcnt(0)
	v_cmp_nlt_f32_e32 vcc, v58, v54
	s_and_saveexec_b64 s[14:15], vcc
	s_xor_b64 s[14:15], exec, s[14:15]
; %bb.34:                               ;   in Loop: Header=BB115_16 Depth=1
	v_cmp_eq_u32_e32 vcc, 0, v59
	v_cndmask_b32_e32 v8, v60, v4, vcc
	v_add_f32_e32 v8, v58, v8
	v_mul_f32_e32 v8, 0.5, v8
	v_cmp_gt_f32_e32 vcc, v8, v54
	v_cndmask_b32_e32 v8, v57, v59, vcc
                                        ; implicit-def: $vgpr56
                                        ; implicit-def: $vgpr55
                                        ; implicit-def: $vgpr58
                                        ; implicit-def: $vgpr54
                                        ; implicit-def: $vgpr57
; %bb.35:                               ;   in Loop: Header=BB115_16 Depth=1
	s_andn2_saveexec_b64 s[14:15], s[14:15]
; %bb.36:                               ;   in Loop: Header=BB115_16 Depth=1
	v_cmp_eq_u32_e32 vcc, s36, v56
	v_cndmask_b32_e32 v8, v55, v2, vcc
	v_add_f32_e32 v8, v58, v8
	v_mul_f32_e32 v8, 0.5, v8
	v_cmp_lt_f32_e32 vcc, v8, v54
	v_cndmask_b32_e32 v8, v57, v56, vcc
; %bb.37:                               ;   in Loop: Header=BB115_16 Depth=1
	s_or_b64 exec, exec, s[14:15]
	v_mul_f32_e32 v54, v3, v9
	v_cmp_lt_f32_e32 vcc, v5, v54
	v_cndmask_b32_e32 v60, 63, v51, vcc
	v_lshlrev_b32_e32 v9, 2, v60
	ds_read_b32 v61, v9 offset:21120
	v_add_u32_e32 v9, 0x5280, v9
	v_cndmask_b32_e32 v55, 0, v50, vcc
	v_cndmask_b32_e32 v59, -1.0, v5, vcc
	v_mov_b32_e32 v56, -16
	s_waitcnt lgkmcnt(0)
	v_cmp_lt_f32_e64 s[14:15], v61, v54
	v_cndmask_b32_e64 v62, v52, 32, s[14:15]
	v_lshl_add_u32 v57, v62, 2, v9
	ds_read_b32 v9, v57
	v_add_u32_e32 v62, v62, v60
	v_cndmask_b32_e64 v58, v55, v60, s[14:15]
	v_cndmask_b32_e64 v59, v59, v61, s[14:15]
	v_mov_b32_e32 v55, v62
	s_waitcnt lgkmcnt(0)
	v_cmp_lt_f32_e64 s[16:17], v9, v54
	s_and_saveexec_b64 s[18:19], s[16:17]
; %bb.38:                               ;   in Loop: Header=BB115_16 Depth=1
	v_cndmask_b32_e32 v55, v50, v53, vcc
	v_cndmask_b32_e64 v56, v5, 1.0, vcc
	v_cndmask_b32_e64 v55, v60, v55, s[14:15]
	v_cndmask_b32_e64 v60, v61, v56, s[14:15]
	v_mov_b32_e32 v56, 16
	v_mov_b32_e32 v58, v62
	;; [unrolled: 1-line block ×4, first 2 shown]
; %bb.39:                               ;   in Loop: Header=BB115_16 Depth=1
	s_or_b64 exec, exec, s[18:19]
	v_lshl_add_u32 v57, v56, 2, v57
	ds_read_b32 v63, v57
	v_add_u32_e32 v64, v56, v62
	v_mov_b32_e32 v62, -4
	s_waitcnt lgkmcnt(0)
	v_cmp_lt_f32_e32 vcc, v63, v54
	v_cndmask_b32_e64 v65, -8, 8, vcc
	v_lshl_add_u32 v61, v65, 2, v57
	ds_read_b32 v57, v61
	v_cndmask_b32_e32 v60, v59, v63, vcc
	v_add_u32_e32 v59, v65, v64
	v_cndmask_b32_e32 v56, v58, v64, vcc
	v_mov_b32_e32 v58, v59
	s_waitcnt lgkmcnt(0)
	v_cmp_lt_f32_e64 s[14:15], v57, v54
	s_and_saveexec_b64 s[16:17], s[14:15]
; %bb.40:                               ;   in Loop: Header=BB115_16 Depth=1
	v_cndmask_b32_e32 v9, v63, v9, vcc
	v_cndmask_b32_e32 v58, v64, v55, vcc
	v_mov_b32_e32 v62, 4
	v_mov_b32_e32 v56, v59
	;; [unrolled: 1-line block ×4, first 2 shown]
; %bb.41:                               ;   in Loop: Header=BB115_16 Depth=1
	s_or_b64 exec, exec, s[16:17]
	v_lshl_add_u32 v9, v62, 2, v61
	ds_read_b32 v63, v9
	v_add_u32_e32 v64, v62, v59
	v_mov_b32_e32 v62, -1
	s_waitcnt lgkmcnt(0)
	v_cmp_lt_f32_e32 vcc, v63, v54
	v_cndmask_b32_e64 v61, -2, 2, vcc
	v_lshl_add_u32 v9, v61, 2, v9
	ds_read_b32 v55, v9
	v_add_u32_e32 v61, v61, v64
	v_cndmask_b32_e32 v59, v56, v64, vcc
	v_cndmask_b32_e32 v60, v60, v63, vcc
	v_mov_b32_e32 v56, v61
	s_waitcnt lgkmcnt(0)
	v_cmp_lt_f32_e64 s[14:15], v55, v54
	s_and_saveexec_b64 s[16:17], s[14:15]
; %bb.42:                               ;   in Loop: Header=BB115_16 Depth=1
	v_cndmask_b32_e32 v57, v63, v57, vcc
	v_cndmask_b32_e32 v56, v64, v58, vcc
	v_mov_b32_e32 v62, 1
	v_mov_b32_e32 v59, v61
	;; [unrolled: 1-line block ×4, first 2 shown]
; %bb.43:                               ;   in Loop: Header=BB115_16 Depth=1
	s_or_b64 exec, exec, s[16:17]
	v_lshl_add_u32 v9, v62, 2, v9
	ds_read_b32 v58, v9
	v_add_u32_e32 v57, v62, v61
                                        ; implicit-def: $vgpr9
	s_waitcnt lgkmcnt(0)
	v_cmp_nlt_f32_e32 vcc, v58, v54
	s_and_saveexec_b64 s[14:15], vcc
	s_xor_b64 s[14:15], exec, s[14:15]
; %bb.44:                               ;   in Loop: Header=BB115_16 Depth=1
	v_cmp_eq_u32_e32 vcc, 0, v59
	v_cndmask_b32_e32 v9, v60, v4, vcc
	v_add_f32_e32 v9, v58, v9
	v_mul_f32_e32 v9, 0.5, v9
	v_cmp_gt_f32_e32 vcc, v9, v54
	v_cndmask_b32_e32 v9, v57, v59, vcc
                                        ; implicit-def: $vgpr56
                                        ; implicit-def: $vgpr55
                                        ; implicit-def: $vgpr58
                                        ; implicit-def: $vgpr54
                                        ; implicit-def: $vgpr57
; %bb.45:                               ;   in Loop: Header=BB115_16 Depth=1
	s_andn2_saveexec_b64 s[14:15], s[14:15]
; %bb.46:                               ;   in Loop: Header=BB115_16 Depth=1
	v_cmp_eq_u32_e32 vcc, s36, v56
	v_cndmask_b32_e32 v9, v55, v2, vcc
	v_add_f32_e32 v9, v58, v9
	v_mul_f32_e32 v9, 0.5, v9
	v_cmp_lt_f32_e32 vcc, v9, v54
	v_cndmask_b32_e32 v9, v57, v56, vcc
; %bb.47:                               ;   in Loop: Header=BB115_16 Depth=1
	s_or_b64 exec, exec, s[14:15]
	v_mul_f32_e32 v54, v3, v6
	v_cmp_lt_f32_e32 vcc, v5, v54
	v_cndmask_b32_e32 v60, 63, v51, vcc
	v_lshlrev_b32_e32 v6, 2, v60
	ds_read_b32 v61, v6 offset:21120
	v_add_u32_e32 v6, 0x5280, v6
	v_cndmask_b32_e32 v55, 0, v50, vcc
	v_cndmask_b32_e32 v59, -1.0, v5, vcc
	v_mov_b32_e32 v56, -16
	s_waitcnt lgkmcnt(0)
	v_cmp_lt_f32_e64 s[14:15], v61, v54
	v_cndmask_b32_e64 v62, v52, 32, s[14:15]
	v_lshl_add_u32 v57, v62, 2, v6
	ds_read_b32 v6, v57
	v_add_u32_e32 v62, v62, v60
	v_cndmask_b32_e64 v58, v55, v60, s[14:15]
	v_cndmask_b32_e64 v59, v59, v61, s[14:15]
	v_mov_b32_e32 v55, v62
	s_waitcnt lgkmcnt(0)
	v_cmp_lt_f32_e64 s[16:17], v6, v54
	s_and_saveexec_b64 s[18:19], s[16:17]
; %bb.48:                               ;   in Loop: Header=BB115_16 Depth=1
	v_cndmask_b32_e32 v55, v50, v53, vcc
	v_cndmask_b32_e64 v56, v5, 1.0, vcc
	v_cndmask_b32_e64 v55, v60, v55, s[14:15]
	v_cndmask_b32_e64 v60, v61, v56, s[14:15]
	v_mov_b32_e32 v56, 16
	v_mov_b32_e32 v58, v62
	;; [unrolled: 1-line block ×4, first 2 shown]
; %bb.49:                               ;   in Loop: Header=BB115_16 Depth=1
	s_or_b64 exec, exec, s[18:19]
	v_lshl_add_u32 v57, v56, 2, v57
	ds_read_b32 v63, v57
	v_add_u32_e32 v64, v56, v62
	v_mov_b32_e32 v62, -4
	s_waitcnt lgkmcnt(0)
	v_cmp_lt_f32_e32 vcc, v63, v54
	v_cndmask_b32_e64 v65, -8, 8, vcc
	v_lshl_add_u32 v61, v65, 2, v57
	ds_read_b32 v57, v61
	v_cndmask_b32_e32 v60, v59, v63, vcc
	v_add_u32_e32 v59, v65, v64
	v_cndmask_b32_e32 v56, v58, v64, vcc
	v_mov_b32_e32 v58, v59
	s_waitcnt lgkmcnt(0)
	v_cmp_lt_f32_e64 s[14:15], v57, v54
	s_and_saveexec_b64 s[16:17], s[14:15]
; %bb.50:                               ;   in Loop: Header=BB115_16 Depth=1
	v_cndmask_b32_e32 v6, v63, v6, vcc
	v_cndmask_b32_e32 v58, v64, v55, vcc
	v_mov_b32_e32 v62, 4
	v_mov_b32_e32 v56, v59
	;; [unrolled: 1-line block ×4, first 2 shown]
; %bb.51:                               ;   in Loop: Header=BB115_16 Depth=1
	s_or_b64 exec, exec, s[16:17]
	v_lshl_add_u32 v6, v62, 2, v61
	ds_read_b32 v63, v6
	v_add_u32_e32 v64, v62, v59
	v_mov_b32_e32 v62, -1
	s_waitcnt lgkmcnt(0)
	v_cmp_lt_f32_e32 vcc, v63, v54
	v_cndmask_b32_e64 v61, -2, 2, vcc
	v_lshl_add_u32 v6, v61, 2, v6
	ds_read_b32 v55, v6
	v_add_u32_e32 v61, v61, v64
	v_cndmask_b32_e32 v59, v56, v64, vcc
	v_cndmask_b32_e32 v60, v60, v63, vcc
	v_mov_b32_e32 v56, v61
	s_waitcnt lgkmcnt(0)
	v_cmp_lt_f32_e64 s[14:15], v55, v54
	s_and_saveexec_b64 s[16:17], s[14:15]
; %bb.52:                               ;   in Loop: Header=BB115_16 Depth=1
	v_cndmask_b32_e32 v57, v63, v57, vcc
	v_cndmask_b32_e32 v56, v64, v58, vcc
	v_mov_b32_e32 v62, 1
	v_mov_b32_e32 v59, v61
	;; [unrolled: 1-line block ×4, first 2 shown]
; %bb.53:                               ;   in Loop: Header=BB115_16 Depth=1
	s_or_b64 exec, exec, s[16:17]
	v_lshl_add_u32 v6, v62, 2, v6
	ds_read_b32 v58, v6
	v_add_u32_e32 v57, v62, v61
                                        ; implicit-def: $vgpr6
	s_waitcnt lgkmcnt(0)
	v_cmp_nlt_f32_e32 vcc, v58, v54
	s_and_saveexec_b64 s[14:15], vcc
	s_xor_b64 s[14:15], exec, s[14:15]
; %bb.54:                               ;   in Loop: Header=BB115_16 Depth=1
	v_cmp_eq_u32_e32 vcc, 0, v59
	v_cndmask_b32_e32 v6, v60, v4, vcc
	v_add_f32_e32 v6, v58, v6
	v_mul_f32_e32 v6, 0.5, v6
	v_cmp_gt_f32_e32 vcc, v6, v54
	v_cndmask_b32_e32 v6, v57, v59, vcc
                                        ; implicit-def: $vgpr56
                                        ; implicit-def: $vgpr55
                                        ; implicit-def: $vgpr58
                                        ; implicit-def: $vgpr54
                                        ; implicit-def: $vgpr57
; %bb.55:                               ;   in Loop: Header=BB115_16 Depth=1
	s_andn2_saveexec_b64 s[14:15], s[14:15]
; %bb.56:                               ;   in Loop: Header=BB115_16 Depth=1
	v_cmp_eq_u32_e32 vcc, s36, v56
	v_cndmask_b32_e32 v6, v55, v2, vcc
	v_add_f32_e32 v6, v58, v6
	v_mul_f32_e32 v6, 0.5, v6
	v_cmp_lt_f32_e32 vcc, v6, v54
	v_cndmask_b32_e32 v6, v57, v56, vcc
; %bb.57:                               ;   in Loop: Header=BB115_16 Depth=1
	s_or_b64 exec, exec, s[14:15]
	v_mul_f32_e32 v3, v3, v7
	v_cmp_lt_f32_e32 vcc, v5, v3
	v_cndmask_b32_e32 v59, 63, v51, vcc
	v_lshlrev_b32_e32 v7, 2, v59
	ds_read_b32 v60, v7 offset:21120
	v_add_u32_e32 v7, 0x5280, v7
	v_cndmask_b32_e32 v55, 0, v50, vcc
	v_cndmask_b32_e32 v58, -1.0, v5, vcc
	v_mov_b32_e32 v54, -16
	s_waitcnt lgkmcnt(0)
	v_cmp_lt_f32_e64 s[14:15], v60, v3
	v_cndmask_b32_e64 v61, v52, 32, s[14:15]
	v_lshl_add_u32 v57, v61, 2, v7
	ds_read_b32 v7, v57
	v_add_u32_e32 v61, v61, v59
	v_cndmask_b32_e64 v56, v55, v59, s[14:15]
	v_cndmask_b32_e64 v58, v58, v60, s[14:15]
	v_mov_b32_e32 v55, v61
	s_waitcnt lgkmcnt(0)
	v_cmp_lt_f32_e64 s[16:17], v7, v3
	s_and_saveexec_b64 s[18:19], s[16:17]
; %bb.58:                               ;   in Loop: Header=BB115_16 Depth=1
	v_cndmask_b32_e64 v5, v5, 1.0, vcc
	v_cndmask_b32_e32 v54, v50, v53, vcc
	v_cndmask_b32_e64 v5, v60, v5, s[14:15]
	v_cndmask_b32_e64 v55, v59, v54, s[14:15]
	v_mov_b32_e32 v54, 16
	v_mov_b32_e32 v56, v61
	;; [unrolled: 1-line block ×4, first 2 shown]
; %bb.59:                               ;   in Loop: Header=BB115_16 Depth=1
	s_or_b64 exec, exec, s[18:19]
	v_lshl_add_u32 v5, v54, 2, v57
	ds_read_b32 v62, v5
	v_add_u32_e32 v61, v54, v61
	v_mov_b32_e32 v60, -4
	s_waitcnt lgkmcnt(0)
	v_cmp_lt_f32_e32 vcc, v62, v3
	v_cndmask_b32_e64 v59, -8, 8, vcc
	v_lshl_add_u32 v5, v59, 2, v5
	ds_read_b32 v54, v5
	v_add_u32_e32 v59, v59, v61
	v_cndmask_b32_e32 v57, v56, v61, vcc
	v_cndmask_b32_e32 v58, v58, v62, vcc
	v_mov_b32_e32 v56, v59
	s_waitcnt lgkmcnt(0)
	v_cmp_lt_f32_e64 s[14:15], v54, v3
	s_and_saveexec_b64 s[16:17], s[14:15]
; %bb.60:                               ;   in Loop: Header=BB115_16 Depth=1
	v_cndmask_b32_e32 v7, v62, v7, vcc
	v_cndmask_b32_e32 v56, v61, v55, vcc
	v_mov_b32_e32 v60, 4
	v_mov_b32_e32 v57, v59
	;; [unrolled: 1-line block ×4, first 2 shown]
; %bb.61:                               ;   in Loop: Header=BB115_16 Depth=1
	s_or_b64 exec, exec, s[16:17]
	v_lshl_add_u32 v5, v60, 2, v5
	ds_read_b32 v62, v5
	v_add_u32_e32 v63, v60, v59
	v_mov_b32_e32 v61, -1
	s_waitcnt lgkmcnt(0)
	v_cmp_lt_f32_e32 vcc, v62, v3
	v_cndmask_b32_e64 v7, -2, 2, vcc
	v_lshl_add_u32 v59, v7, 2, v5
	ds_read_b32 v5, v59
	v_add_u32_e32 v60, v7, v63
	v_cndmask_b32_e32 v55, v57, v63, vcc
	v_cndmask_b32_e32 v57, v58, v62, vcc
	v_mov_b32_e32 v7, v60
	s_waitcnt lgkmcnt(0)
	v_cmp_lt_f32_e64 s[14:15], v5, v3
	s_and_saveexec_b64 s[16:17], s[14:15]
; %bb.62:                               ;   in Loop: Header=BB115_16 Depth=1
	v_cndmask_b32_e32 v54, v62, v54, vcc
	v_cndmask_b32_e32 v7, v63, v56, vcc
	v_mov_b32_e32 v61, 1
	v_mov_b32_e32 v55, v60
	;; [unrolled: 1-line block ×4, first 2 shown]
; %bb.63:                               ;   in Loop: Header=BB115_16 Depth=1
	s_or_b64 exec, exec, s[16:17]
	v_lshl_add_u32 v54, v61, 2, v59
	ds_read_b32 v58, v54
	v_add_u32_e32 v56, v61, v60
                                        ; implicit-def: $vgpr54
	s_waitcnt lgkmcnt(0)
	v_cmp_nlt_f32_e32 vcc, v58, v3
	s_and_saveexec_b64 s[14:15], vcc
	s_xor_b64 s[14:15], exec, s[14:15]
; %bb.64:                               ;   in Loop: Header=BB115_16 Depth=1
	v_cmp_eq_u32_e32 vcc, 0, v55
	v_cndmask_b32_e32 v2, v57, v4, vcc
	v_add_f32_e32 v2, v58, v2
	v_mul_f32_e32 v2, 0.5, v2
	v_cmp_gt_f32_e32 vcc, v2, v3
	v_cndmask_b32_e32 v54, v56, v55, vcc
                                        ; implicit-def: $vgpr2_vgpr3
                                        ; implicit-def: $vgpr7
                                        ; implicit-def: $vgpr5
                                        ; implicit-def: $vgpr58
                                        ; implicit-def: $vgpr3
                                        ; implicit-def: $vgpr56
; %bb.65:                               ;   in Loop: Header=BB115_16 Depth=1
	s_andn2_saveexec_b64 s[14:15], s[14:15]
; %bb.66:                               ;   in Loop: Header=BB115_16 Depth=1
	v_cmp_eq_u32_e32 vcc, s36, v7
	v_cndmask_b32_e32 v2, v5, v2, vcc
	v_add_f32_e32 v2, v58, v2
	v_mul_f32_e32 v2, 0.5, v2
	v_cmp_lt_f32_e32 vcc, v2, v3
	v_cndmask_b32_e32 v54, v56, v7, vcc
; %bb.67:                               ;   in Loop: Header=BB115_16 Depth=1
	s_or_b64 exec, exec, s[14:15]
	s_barrier
	ds_write_b8 v0, v8 offset:16896
	ds_write_b8 v0, v9 offset:16897
	;; [unrolled: 1-line block ×4, first 2 shown]
	; wave barrier
	ds_read_u8 v6, v45 offset:16896
	ds_read_u8 v5, v46 offset:16896
	;; [unrolled: 1-line block ×3, first 2 shown]
	v_mov_b32_e32 v3, s35
	v_add_co_u32_e32 v2, vcc, s34, v48
	v_addc_co_u32_e32 v3, vcc, v49, v3, vcc
	s_and_saveexec_b64 s[14:15], s[6:7]
	s_xor_b64 s[6:7], exec, s[14:15]
	s_cbranch_execnz .LBB115_74
; %bb.68:                               ;   in Loop: Header=BB115_16 Depth=1
	s_or_b64 exec, exec, s[6:7]
	s_and_saveexec_b64 s[6:7], s[8:9]
	s_cbranch_execnz .LBB115_75
.LBB115_69:                             ;   in Loop: Header=BB115_16 Depth=1
	s_or_b64 exec, exec, s[6:7]
	s_and_saveexec_b64 s[6:7], s[10:11]
	s_cbranch_execnz .LBB115_76
.LBB115_70:                             ;   in Loop: Header=BB115_16 Depth=1
	s_or_b64 exec, exec, s[6:7]
	s_and_saveexec_b64 s[6:7], s[12:13]
	s_cbranch_execz .LBB115_15
	s_branch .LBB115_77
.LBB115_71:                             ;   in Loop: Header=BB115_16 Depth=1
	global_load_dword v8, v[6:7], off
	v_mov_b32_e32 v2, v1
	v_mov_b32_e32 v3, v1
	v_pk_mov_b32 v[4:5], v[2:3], v[2:3] op_sel:[0,1]
	v_pk_mov_b32 v[2:3], v[0:1], v[0:1] op_sel:[0,1]
	s_or_b64 exec, exec, s[8:9]
	v_cmp_gt_u32_e64 s[8:9], s39, v13
	s_and_saveexec_b64 s[10:11], s[8:9]
	s_cbranch_execz .LBB115_18
.LBB115_72:                             ;   in Loop: Header=BB115_16 Depth=1
	global_load_dword v3, v[6:7], off offset:256
	s_or_b64 exec, exec, s[10:11]
	v_cmp_gt_u32_e64 s[10:11], s39, v14
	s_and_saveexec_b64 s[12:13], s[10:11]
	s_cbranch_execz .LBB115_19
.LBB115_73:                             ;   in Loop: Header=BB115_16 Depth=1
	global_load_dword v4, v[6:7], off offset:512
	s_or_b64 exec, exec, s[12:13]
	v_cmp_gt_u32_e64 s[12:13], s39, v15
	s_and_saveexec_b64 s[14:15], s[12:13]
	s_cbranch_execnz .LBB115_20
	s_branch .LBB115_21
.LBB115_74:                             ;   in Loop: Header=BB115_16 Depth=1
	ds_read_u8 v7, v44 offset:16896
	s_waitcnt lgkmcnt(0)
	global_store_byte v[2:3], v7, off
	s_or_b64 exec, exec, s[6:7]
	s_and_saveexec_b64 s[6:7], s[8:9]
	s_cbranch_execz .LBB115_69
.LBB115_75:                             ;   in Loop: Header=BB115_16 Depth=1
	s_waitcnt lgkmcnt(2)
	global_store_byte v[2:3], v6, off offset:64
	s_or_b64 exec, exec, s[6:7]
	s_and_saveexec_b64 s[6:7], s[10:11]
	s_cbranch_execz .LBB115_70
.LBB115_76:                             ;   in Loop: Header=BB115_16 Depth=1
	s_waitcnt lgkmcnt(1)
	global_store_byte v[2:3], v5, off offset:128
	s_or_b64 exec, exec, s[6:7]
	s_and_saveexec_b64 s[6:7], s[12:13]
	s_cbranch_execz .LBB115_15
.LBB115_77:                             ;   in Loop: Header=BB115_16 Depth=1
	s_waitcnt lgkmcnt(0)
	global_store_byte v[2:3], v4, off offset:192
	s_branch .LBB115_15
.LBB115_78:
	s_endpgm
	.section	.rodata,"a",@progbits
	.p2align	6, 0x0
	.amdhsa_kernel _Z18kQuantizeBlockwiseIfLi4096ELi4ELi0ELi0EEvPfPT_S0_PhS0_ii
		.amdhsa_group_segment_fixed_size 22212
		.amdhsa_private_segment_fixed_size 0
		.amdhsa_kernarg_size 304
		.amdhsa_user_sgpr_count 6
		.amdhsa_user_sgpr_private_segment_buffer 1
		.amdhsa_user_sgpr_dispatch_ptr 0
		.amdhsa_user_sgpr_queue_ptr 0
		.amdhsa_user_sgpr_kernarg_segment_ptr 1
		.amdhsa_user_sgpr_dispatch_id 0
		.amdhsa_user_sgpr_flat_scratch_init 0
		.amdhsa_user_sgpr_kernarg_preload_length 0
		.amdhsa_user_sgpr_kernarg_preload_offset 0
		.amdhsa_user_sgpr_private_segment_size 0
		.amdhsa_uses_dynamic_stack 0
		.amdhsa_system_sgpr_private_segment_wavefront_offset 0
		.amdhsa_system_sgpr_workgroup_id_x 1
		.amdhsa_system_sgpr_workgroup_id_y 0
		.amdhsa_system_sgpr_workgroup_id_z 0
		.amdhsa_system_sgpr_workgroup_info 0
		.amdhsa_system_vgpr_workitem_id 0
		.amdhsa_next_free_vgpr 66
		.amdhsa_next_free_sgpr 40
		.amdhsa_accum_offset 68
		.amdhsa_reserve_vcc 1
		.amdhsa_reserve_flat_scratch 0
		.amdhsa_float_round_mode_32 0
		.amdhsa_float_round_mode_16_64 0
		.amdhsa_float_denorm_mode_32 3
		.amdhsa_float_denorm_mode_16_64 3
		.amdhsa_dx10_clamp 1
		.amdhsa_ieee_mode 1
		.amdhsa_fp16_overflow 0
		.amdhsa_tg_split 0
		.amdhsa_exception_fp_ieee_invalid_op 0
		.amdhsa_exception_fp_denorm_src 0
		.amdhsa_exception_fp_ieee_div_zero 0
		.amdhsa_exception_fp_ieee_overflow 0
		.amdhsa_exception_fp_ieee_underflow 0
		.amdhsa_exception_fp_ieee_inexact 0
		.amdhsa_exception_int_div_zero 0
	.end_amdhsa_kernel
	.section	.text._Z18kQuantizeBlockwiseIfLi4096ELi4ELi0ELi0EEvPfPT_S0_PhS0_ii,"axG",@progbits,_Z18kQuantizeBlockwiseIfLi4096ELi4ELi0ELi0EEvPfPT_S0_PhS0_ii,comdat
.Lfunc_end115:
	.size	_Z18kQuantizeBlockwiseIfLi4096ELi4ELi0ELi0EEvPfPT_S0_PhS0_ii, .Lfunc_end115-_Z18kQuantizeBlockwiseIfLi4096ELi4ELi0ELi0EEvPfPT_S0_PhS0_ii
                                        ; -- End function
	.section	.AMDGPU.csdata,"",@progbits
; Kernel info:
; codeLenInByte = 4868
; NumSgprs: 44
; NumVgprs: 66
; NumAgprs: 0
; TotalNumVgprs: 66
; ScratchSize: 0
; MemoryBound: 0
; FloatMode: 240
; IeeeMode: 1
; LDSByteSize: 22212 bytes/workgroup (compile time only)
; SGPRBlocks: 5
; VGPRBlocks: 8
; NumSGPRsForWavesPerEU: 44
; NumVGPRsForWavesPerEU: 66
; AccumOffset: 68
; Occupancy: 7
; WaveLimiterHint : 0
; COMPUTE_PGM_RSRC2:SCRATCH_EN: 0
; COMPUTE_PGM_RSRC2:USER_SGPR: 6
; COMPUTE_PGM_RSRC2:TRAP_HANDLER: 0
; COMPUTE_PGM_RSRC2:TGID_X_EN: 1
; COMPUTE_PGM_RSRC2:TGID_Y_EN: 0
; COMPUTE_PGM_RSRC2:TGID_Z_EN: 0
; COMPUTE_PGM_RSRC2:TIDIG_COMP_CNT: 0
; COMPUTE_PGM_RSRC3_GFX90A:ACCUM_OFFSET: 16
; COMPUTE_PGM_RSRC3_GFX90A:TG_SPLIT: 0
	.section	.text._Z18kQuantizeBlockwiseIfLi4096ELi4ELi1ELi0EEvPfPT_S0_PhS0_ii,"axG",@progbits,_Z18kQuantizeBlockwiseIfLi4096ELi4ELi1ELi0EEvPfPT_S0_PhS0_ii,comdat
